;; amdgpu-corpus repo=ROCm/rocFFT kind=compiled arch=gfx1100 opt=O3
	.text
	.amdgcn_target "amdgcn-amd-amdhsa--gfx1100"
	.amdhsa_code_object_version 6
	.protected	fft_rtc_back_len1980_factors_11_2_3_3_5_2_wgs_198_tpt_198_halfLds_half_op_CI_CI_unitstride_sbrr_dirReg ; -- Begin function fft_rtc_back_len1980_factors_11_2_3_3_5_2_wgs_198_tpt_198_halfLds_half_op_CI_CI_unitstride_sbrr_dirReg
	.globl	fft_rtc_back_len1980_factors_11_2_3_3_5_2_wgs_198_tpt_198_halfLds_half_op_CI_CI_unitstride_sbrr_dirReg
	.p2align	8
	.type	fft_rtc_back_len1980_factors_11_2_3_3_5_2_wgs_198_tpt_198_halfLds_half_op_CI_CI_unitstride_sbrr_dirReg,@function
fft_rtc_back_len1980_factors_11_2_3_3_5_2_wgs_198_tpt_198_halfLds_half_op_CI_CI_unitstride_sbrr_dirReg: ; @fft_rtc_back_len1980_factors_11_2_3_3_5_2_wgs_198_tpt_198_halfLds_half_op_CI_CI_unitstride_sbrr_dirReg
; %bb.0:
	s_clause 0x2
	s_load_b128 s[8:11], s[0:1], 0x0
	s_load_b128 s[4:7], s[0:1], 0x58
	;; [unrolled: 1-line block ×3, first 2 shown]
	v_mul_u32_u24_e32 v1, 0x14b, v0
	v_mov_b32_e32 v5, 0
	v_mov_b32_e32 v7, 0
	;; [unrolled: 1-line block ×3, first 2 shown]
	s_delay_alu instid0(VALU_DEP_4) | instskip(NEXT) | instid1(VALU_DEP_1)
	v_lshrrev_b32_e32 v1, 16, v1
	v_dual_mov_b32 v10, v5 :: v_dual_add_nc_u32 v9, s15, v1
	s_waitcnt lgkmcnt(0)
	v_cmp_lt_u64_e64 s2, s[10:11], 2
	s_delay_alu instid0(VALU_DEP_1)
	s_and_b32 vcc_lo, exec_lo, s2
	s_cbranch_vccnz .LBB0_8
; %bb.1:
	s_load_b64 s[2:3], s[0:1], 0x10
	v_mov_b32_e32 v7, 0
	v_mov_b32_e32 v8, 0
	s_add_u32 s12, s18, 8
	s_addc_u32 s13, s19, 0
	s_add_u32 s14, s16, 8
	s_delay_alu instid0(VALU_DEP_1)
	v_dual_mov_b32 v1, v7 :: v_dual_mov_b32 v2, v8
	s_addc_u32 s15, s17, 0
	s_mov_b64 s[22:23], 1
	s_waitcnt lgkmcnt(0)
	s_add_u32 s20, s2, 8
	s_addc_u32 s21, s3, 0
.LBB0_2:                                ; =>This Inner Loop Header: Depth=1
	s_load_b64 s[24:25], s[20:21], 0x0
                                        ; implicit-def: $vgpr3_vgpr4
	s_mov_b32 s2, exec_lo
	s_waitcnt lgkmcnt(0)
	v_or_b32_e32 v6, s25, v10
	s_delay_alu instid0(VALU_DEP_1)
	v_cmpx_ne_u64_e32 0, v[5:6]
	s_xor_b32 s3, exec_lo, s2
	s_cbranch_execz .LBB0_4
; %bb.3:                                ;   in Loop: Header=BB0_2 Depth=1
	v_cvt_f32_u32_e32 v3, s24
	v_cvt_f32_u32_e32 v4, s25
	s_sub_u32 s2, 0, s24
	s_subb_u32 s26, 0, s25
	s_delay_alu instid0(VALU_DEP_1) | instskip(NEXT) | instid1(VALU_DEP_1)
	v_fmac_f32_e32 v3, 0x4f800000, v4
	v_rcp_f32_e32 v3, v3
	s_waitcnt_depctr 0xfff
	v_mul_f32_e32 v3, 0x5f7ffffc, v3
	s_delay_alu instid0(VALU_DEP_1) | instskip(NEXT) | instid1(VALU_DEP_1)
	v_mul_f32_e32 v4, 0x2f800000, v3
	v_trunc_f32_e32 v4, v4
	s_delay_alu instid0(VALU_DEP_1) | instskip(SKIP_1) | instid1(VALU_DEP_2)
	v_fmac_f32_e32 v3, 0xcf800000, v4
	v_cvt_u32_f32_e32 v4, v4
	v_cvt_u32_f32_e32 v3, v3
	s_delay_alu instid0(VALU_DEP_2) | instskip(NEXT) | instid1(VALU_DEP_2)
	v_mul_lo_u32 v6, s2, v4
	v_mul_hi_u32 v11, s2, v3
	v_mul_lo_u32 v12, s26, v3
	s_delay_alu instid0(VALU_DEP_2) | instskip(SKIP_1) | instid1(VALU_DEP_2)
	v_add_nc_u32_e32 v6, v11, v6
	v_mul_lo_u32 v11, s2, v3
	v_add_nc_u32_e32 v6, v6, v12
	s_delay_alu instid0(VALU_DEP_2) | instskip(NEXT) | instid1(VALU_DEP_2)
	v_mul_hi_u32 v12, v3, v11
	v_mul_lo_u32 v13, v3, v6
	v_mul_hi_u32 v14, v3, v6
	v_mul_hi_u32 v15, v4, v11
	v_mul_lo_u32 v11, v4, v11
	v_mul_hi_u32 v16, v4, v6
	v_mul_lo_u32 v6, v4, v6
	v_add_co_u32 v12, vcc_lo, v12, v13
	v_add_co_ci_u32_e32 v13, vcc_lo, 0, v14, vcc_lo
	s_delay_alu instid0(VALU_DEP_2) | instskip(NEXT) | instid1(VALU_DEP_2)
	v_add_co_u32 v11, vcc_lo, v12, v11
	v_add_co_ci_u32_e32 v11, vcc_lo, v13, v15, vcc_lo
	v_add_co_ci_u32_e32 v12, vcc_lo, 0, v16, vcc_lo
	s_delay_alu instid0(VALU_DEP_2) | instskip(NEXT) | instid1(VALU_DEP_2)
	v_add_co_u32 v6, vcc_lo, v11, v6
	v_add_co_ci_u32_e32 v11, vcc_lo, 0, v12, vcc_lo
	s_delay_alu instid0(VALU_DEP_2) | instskip(NEXT) | instid1(VALU_DEP_2)
	v_add_co_u32 v3, vcc_lo, v3, v6
	v_add_co_ci_u32_e32 v4, vcc_lo, v4, v11, vcc_lo
	s_delay_alu instid0(VALU_DEP_2) | instskip(SKIP_1) | instid1(VALU_DEP_3)
	v_mul_hi_u32 v6, s2, v3
	v_mul_lo_u32 v12, s26, v3
	v_mul_lo_u32 v11, s2, v4
	s_delay_alu instid0(VALU_DEP_1) | instskip(SKIP_1) | instid1(VALU_DEP_2)
	v_add_nc_u32_e32 v6, v6, v11
	v_mul_lo_u32 v11, s2, v3
	v_add_nc_u32_e32 v6, v6, v12
	s_delay_alu instid0(VALU_DEP_2) | instskip(NEXT) | instid1(VALU_DEP_2)
	v_mul_hi_u32 v12, v3, v11
	v_mul_lo_u32 v13, v3, v6
	v_mul_hi_u32 v14, v3, v6
	v_mul_hi_u32 v15, v4, v11
	v_mul_lo_u32 v11, v4, v11
	v_mul_hi_u32 v16, v4, v6
	v_mul_lo_u32 v6, v4, v6
	v_add_co_u32 v12, vcc_lo, v12, v13
	v_add_co_ci_u32_e32 v13, vcc_lo, 0, v14, vcc_lo
	s_delay_alu instid0(VALU_DEP_2) | instskip(NEXT) | instid1(VALU_DEP_2)
	v_add_co_u32 v11, vcc_lo, v12, v11
	v_add_co_ci_u32_e32 v11, vcc_lo, v13, v15, vcc_lo
	v_add_co_ci_u32_e32 v12, vcc_lo, 0, v16, vcc_lo
	s_delay_alu instid0(VALU_DEP_2) | instskip(NEXT) | instid1(VALU_DEP_2)
	v_add_co_u32 v6, vcc_lo, v11, v6
	v_add_co_ci_u32_e32 v11, vcc_lo, 0, v12, vcc_lo
	s_delay_alu instid0(VALU_DEP_2) | instskip(NEXT) | instid1(VALU_DEP_2)
	v_add_co_u32 v6, vcc_lo, v3, v6
	v_add_co_ci_u32_e32 v15, vcc_lo, v4, v11, vcc_lo
	s_delay_alu instid0(VALU_DEP_2) | instskip(SKIP_1) | instid1(VALU_DEP_3)
	v_mul_hi_u32 v16, v9, v6
	v_mad_u64_u32 v[11:12], null, v10, v6, 0
	v_mad_u64_u32 v[3:4], null, v9, v15, 0
	;; [unrolled: 1-line block ×3, first 2 shown]
	s_delay_alu instid0(VALU_DEP_2) | instskip(NEXT) | instid1(VALU_DEP_3)
	v_add_co_u32 v3, vcc_lo, v16, v3
	v_add_co_ci_u32_e32 v4, vcc_lo, 0, v4, vcc_lo
	s_delay_alu instid0(VALU_DEP_2) | instskip(NEXT) | instid1(VALU_DEP_2)
	v_add_co_u32 v3, vcc_lo, v3, v11
	v_add_co_ci_u32_e32 v3, vcc_lo, v4, v12, vcc_lo
	v_add_co_ci_u32_e32 v4, vcc_lo, 0, v14, vcc_lo
	s_delay_alu instid0(VALU_DEP_2) | instskip(NEXT) | instid1(VALU_DEP_2)
	v_add_co_u32 v6, vcc_lo, v3, v13
	v_add_co_ci_u32_e32 v11, vcc_lo, 0, v4, vcc_lo
	s_delay_alu instid0(VALU_DEP_2) | instskip(SKIP_1) | instid1(VALU_DEP_3)
	v_mul_lo_u32 v12, s25, v6
	v_mad_u64_u32 v[3:4], null, s24, v6, 0
	v_mul_lo_u32 v13, s24, v11
	s_delay_alu instid0(VALU_DEP_2) | instskip(NEXT) | instid1(VALU_DEP_2)
	v_sub_co_u32 v3, vcc_lo, v9, v3
	v_add3_u32 v4, v4, v13, v12
	s_delay_alu instid0(VALU_DEP_1) | instskip(NEXT) | instid1(VALU_DEP_1)
	v_sub_nc_u32_e32 v12, v10, v4
	v_subrev_co_ci_u32_e64 v12, s2, s25, v12, vcc_lo
	v_add_co_u32 v13, s2, v6, 2
	s_delay_alu instid0(VALU_DEP_1) | instskip(SKIP_3) | instid1(VALU_DEP_3)
	v_add_co_ci_u32_e64 v14, s2, 0, v11, s2
	v_sub_co_u32 v15, s2, v3, s24
	v_sub_co_ci_u32_e32 v4, vcc_lo, v10, v4, vcc_lo
	v_subrev_co_ci_u32_e64 v12, s2, 0, v12, s2
	v_cmp_le_u32_e32 vcc_lo, s24, v15
	s_delay_alu instid0(VALU_DEP_3) | instskip(SKIP_1) | instid1(VALU_DEP_4)
	v_cmp_eq_u32_e64 s2, s25, v4
	v_cndmask_b32_e64 v15, 0, -1, vcc_lo
	v_cmp_le_u32_e32 vcc_lo, s25, v12
	v_cndmask_b32_e64 v16, 0, -1, vcc_lo
	v_cmp_le_u32_e32 vcc_lo, s24, v3
	;; [unrolled: 2-line block ×3, first 2 shown]
	v_cndmask_b32_e64 v17, 0, -1, vcc_lo
	v_cmp_eq_u32_e32 vcc_lo, s25, v12
	s_delay_alu instid0(VALU_DEP_2) | instskip(SKIP_3) | instid1(VALU_DEP_3)
	v_cndmask_b32_e64 v3, v17, v3, s2
	v_cndmask_b32_e32 v12, v16, v15, vcc_lo
	v_add_co_u32 v15, vcc_lo, v6, 1
	v_add_co_ci_u32_e32 v16, vcc_lo, 0, v11, vcc_lo
	v_cmp_ne_u32_e32 vcc_lo, 0, v12
	s_delay_alu instid0(VALU_DEP_2) | instskip(NEXT) | instid1(VALU_DEP_4)
	v_cndmask_b32_e32 v4, v16, v14, vcc_lo
	v_cndmask_b32_e32 v12, v15, v13, vcc_lo
	v_cmp_ne_u32_e32 vcc_lo, 0, v3
	s_delay_alu instid0(VALU_DEP_3) | instskip(NEXT) | instid1(VALU_DEP_3)
	v_cndmask_b32_e32 v4, v11, v4, vcc_lo
	v_cndmask_b32_e32 v3, v6, v12, vcc_lo
.LBB0_4:                                ;   in Loop: Header=BB0_2 Depth=1
	s_and_not1_saveexec_b32 s2, s3
	s_cbranch_execz .LBB0_6
; %bb.5:                                ;   in Loop: Header=BB0_2 Depth=1
	v_cvt_f32_u32_e32 v3, s24
	s_sub_i32 s3, 0, s24
	s_delay_alu instid0(VALU_DEP_1) | instskip(SKIP_2) | instid1(VALU_DEP_1)
	v_rcp_iflag_f32_e32 v3, v3
	s_waitcnt_depctr 0xfff
	v_mul_f32_e32 v3, 0x4f7ffffe, v3
	v_cvt_u32_f32_e32 v3, v3
	s_delay_alu instid0(VALU_DEP_1) | instskip(NEXT) | instid1(VALU_DEP_1)
	v_mul_lo_u32 v4, s3, v3
	v_mul_hi_u32 v4, v3, v4
	s_delay_alu instid0(VALU_DEP_1) | instskip(NEXT) | instid1(VALU_DEP_1)
	v_add_nc_u32_e32 v3, v3, v4
	v_mul_hi_u32 v3, v9, v3
	s_delay_alu instid0(VALU_DEP_1) | instskip(SKIP_1) | instid1(VALU_DEP_2)
	v_mul_lo_u32 v4, v3, s24
	v_add_nc_u32_e32 v6, 1, v3
	v_sub_nc_u32_e32 v4, v9, v4
	s_delay_alu instid0(VALU_DEP_1) | instskip(SKIP_1) | instid1(VALU_DEP_2)
	v_subrev_nc_u32_e32 v11, s24, v4
	v_cmp_le_u32_e32 vcc_lo, s24, v4
	v_dual_cndmask_b32 v4, v4, v11 :: v_dual_cndmask_b32 v3, v3, v6
	s_delay_alu instid0(VALU_DEP_1) | instskip(NEXT) | instid1(VALU_DEP_2)
	v_cmp_le_u32_e32 vcc_lo, s24, v4
	v_add_nc_u32_e32 v6, 1, v3
	s_delay_alu instid0(VALU_DEP_1)
	v_dual_mov_b32 v4, v5 :: v_dual_cndmask_b32 v3, v3, v6
.LBB0_6:                                ;   in Loop: Header=BB0_2 Depth=1
	s_or_b32 exec_lo, exec_lo, s2
	s_delay_alu instid0(VALU_DEP_1) | instskip(NEXT) | instid1(VALU_DEP_2)
	v_mul_lo_u32 v6, v4, s24
	v_mul_lo_u32 v13, v3, s25
	s_load_b64 s[2:3], s[14:15], 0x0
	v_mad_u64_u32 v[11:12], null, v3, s24, 0
	s_load_b64 s[24:25], s[12:13], 0x0
	s_add_u32 s22, s22, 1
	s_addc_u32 s23, s23, 0
	s_add_u32 s12, s12, 8
	s_addc_u32 s13, s13, 0
	s_add_u32 s14, s14, 8
	s_delay_alu instid0(VALU_DEP_1) | instskip(SKIP_3) | instid1(VALU_DEP_2)
	v_add3_u32 v6, v12, v13, v6
	v_sub_co_u32 v13, vcc_lo, v9, v11
	s_addc_u32 s15, s15, 0
	s_add_u32 s20, s20, 8
	v_sub_co_ci_u32_e32 v6, vcc_lo, v10, v6, vcc_lo
	s_addc_u32 s21, s21, 0
	s_waitcnt lgkmcnt(0)
	s_delay_alu instid0(VALU_DEP_1)
	v_mul_lo_u32 v14, s2, v6
	v_mul_lo_u32 v15, s3, v13
	v_mad_u64_u32 v[9:10], null, s2, v13, v[7:8]
	v_mul_lo_u32 v6, s24, v6
	v_mul_lo_u32 v16, s25, v13
	v_mad_u64_u32 v[11:12], null, s24, v13, v[1:2]
	v_cmp_ge_u64_e64 s2, s[22:23], s[10:11]
	v_add3_u32 v8, v15, v10, v14
	v_mov_b32_e32 v7, v9
	s_delay_alu instid0(VALU_DEP_4)
	v_add3_u32 v2, v16, v12, v6
	v_mov_b32_e32 v1, v11
	s_and_b32 vcc_lo, exec_lo, s2
	s_cbranch_vccnz .LBB0_9
; %bb.7:                                ;   in Loop: Header=BB0_2 Depth=1
	v_dual_mov_b32 v10, v4 :: v_dual_mov_b32 v9, v3
	s_branch .LBB0_2
.LBB0_8:
	v_dual_mov_b32 v1, v7 :: v_dual_mov_b32 v2, v8
	v_dual_mov_b32 v3, v9 :: v_dual_mov_b32 v4, v10
.LBB0_9:
	s_load_b64 s[0:1], s[0:1], 0x28
	v_mul_hi_u32 v5, 0x14afd6b, v0
	s_lshl_b64 s[10:11], s[10:11], 3
	v_mov_b32_e32 v9, 0
	v_mov_b32_e32 v23, 0
	s_add_u32 s2, s18, s10
	s_addc_u32 s3, s19, s11
                                        ; implicit-def: $vgpr30
                                        ; implicit-def: $vgpr20
                                        ; implicit-def: $vgpr29
                                        ; implicit-def: $vgpr21
                                        ; implicit-def: $vgpr28
                                        ; implicit-def: $vgpr18
                                        ; implicit-def: $vgpr27
                                        ; implicit-def: $vgpr16
                                        ; implicit-def: $vgpr13
                                        ; implicit-def: $vgpr15
                                        ; implicit-def: $vgpr17
                                        ; implicit-def: $vgpr14
                                        ; implicit-def: $vgpr19
                                        ; implicit-def: $vgpr12
                                        ; implicit-def: $vgpr22
                                        ; implicit-def: $vgpr11
                                        ; implicit-def: $vgpr24
                                        ; implicit-def: $vgpr10
                                        ; implicit-def: $vgpr25
	s_delay_alu instid0(VALU_DEP_3) | instskip(NEXT) | instid1(VALU_DEP_1)
	v_mul_u32_u24_e32 v5, 0xc6, v5
	v_sub_nc_u32_e32 v5, v0, v5
                                        ; implicit-def: $vgpr0
	s_waitcnt lgkmcnt(0)
	v_cmp_gt_u64_e32 vcc_lo, s[0:1], v[3:4]
	s_delay_alu instid0(VALU_DEP_2) | instskip(NEXT) | instid1(VALU_DEP_1)
	v_cmp_gt_u32_e64 s0, 0xb4, v5
	s_and_b32 s1, vcc_lo, s0
	s_delay_alu instid0(SALU_CYCLE_1)
	s_and_saveexec_b32 s12, s1
	s_cbranch_execz .LBB0_11
; %bb.10:
	s_add_u32 s10, s16, s10
	s_addc_u32 s11, s17, s11
	v_lshlrev_b64 v[7:8], 2, v[7:8]
	s_load_b64 s[10:11], s[10:11], 0x0
	s_waitcnt lgkmcnt(0)
	v_mul_lo_u32 v0, s11, v3
	v_mul_lo_u32 v6, s10, v4
	v_mad_u64_u32 v[9:10], null, s10, v3, 0
	s_delay_alu instid0(VALU_DEP_1) | instskip(SKIP_1) | instid1(VALU_DEP_2)
	v_add3_u32 v10, v10, v6, v0
	v_mov_b32_e32 v6, 0
	v_lshlrev_b64 v[9:10], 2, v[9:10]
	s_delay_alu instid0(VALU_DEP_1) | instskip(NEXT) | instid1(VALU_DEP_1)
	v_add_co_u32 v0, s1, s4, v9
	v_add_co_ci_u32_e64 v11, s1, s5, v10, s1
	s_delay_alu instid0(VALU_DEP_4) | instskip(NEXT) | instid1(VALU_DEP_3)
	v_lshlrev_b64 v[9:10], 2, v[5:6]
	v_add_co_u32 v0, s1, v0, v7
	s_delay_alu instid0(VALU_DEP_1) | instskip(NEXT) | instid1(VALU_DEP_2)
	v_add_co_ci_u32_e64 v7, s1, v11, v8, s1
	v_add_co_u32 v6, s1, v0, v9
	s_delay_alu instid0(VALU_DEP_1) | instskip(NEXT) | instid1(VALU_DEP_2)
	v_add_co_ci_u32_e64 v7, s1, v7, v10, s1
	v_add_co_u32 v8, s1, 0x1000, v6
	s_delay_alu instid0(VALU_DEP_1)
	v_add_co_ci_u32_e64 v9, s1, 0, v7, s1
	s_clause 0xa
	global_load_b32 v23, v[6:7], off
	global_load_b32 v20, v[6:7], off offset:720
	global_load_b32 v21, v[6:7], off offset:1440
	;; [unrolled: 1-line block ×10, first 2 shown]
	s_waitcnt vmcnt(10)
	v_lshrrev_b32_e32 v9, 16, v23
	s_waitcnt vmcnt(9)
	v_lshrrev_b32_e32 v30, 16, v20
	;; [unrolled: 2-line block ×11, first 2 shown]
.LBB0_11:
	s_or_b32 exec_lo, exec_lo, s12
	s_delay_alu instid0(VALU_DEP_1)
	v_sub_f16_e32 v33, v30, v10
	v_add_f16_e32 v7, v20, v25
	v_sub_f16_e32 v35, v29, v11
	v_add_f16_e32 v8, v21, v24
	v_sub_f16_e32 v38, v28, v12
	v_mul_f16_e32 v34, 0xb853, v33
	v_add_f16_e32 v26, v18, v22
	v_mul_f16_e32 v36, 0xbb47, v35
	v_sub_f16_e32 v41, v27, v14
	v_mul_f16_e32 v40, 0xbbeb, v38
	v_fma_f16 v6, v7, 0x3abb, -v34
	v_add_f16_e32 v31, v0, v19
	v_fma_f16 v32, v8, 0x36a6, -v36
	v_mul_f16_e32 v37, 0xba0c, v41
	v_fma_f16 v39, v26, 0xb08e, -v40
	v_add_f16_e32 v6, v23, v6
	v_sub_f16_e32 v42, v16, v15
	s_delay_alu instid0(VALU_DEP_4) | instskip(NEXT) | instid1(VALU_DEP_3)
	v_fma_f16 v43, v31, 0xb93d, -v37
	v_add_f16_e32 v6, v32, v6
	v_add_f16_e32 v32, v13, v17
	s_delay_alu instid0(VALU_DEP_2) | instskip(SKIP_1) | instid1(VALU_DEP_2)
	v_add_f16_e32 v6, v39, v6
	v_mul_f16_e32 v39, 0xb482, v42
	v_add_f16_e32 v6, v43, v6
	s_delay_alu instid0(VALU_DEP_2) | instskip(NEXT) | instid1(VALU_DEP_1)
	v_fma_f16 v43, v32, 0xbbad, -v39
	v_add_f16_e32 v6, v43, v6
	s_and_saveexec_b32 s1, s0
	s_cbranch_execz .LBB0_13
; %bb.12:
	v_mul_f16_e32 v44, 0x3abb, v7
	v_add_f16_e32 v43, v23, v20
	v_mul_f16_e32 v45, 0x36a6, v8
	v_mul_f16_e32 v46, 0xb08e, v26
	;; [unrolled: 1-line block ×3, first 2 shown]
	v_add_f16_e32 v34, v34, v44
	v_add_f16_e32 v43, v43, v21
	;; [unrolled: 1-line block ×4, first 2 shown]
	v_mul_f16_e32 v48, 0xbbad, v32
	v_add_f16_e32 v34, v23, v34
	v_add_f16_e32 v43, v43, v18
	v_pk_mul_f16 v49, 0xb482ba0c, v33 op_sel_hi:[1,0]
	v_add_f16_e32 v37, v37, v47
	v_pk_mul_f16 v33, 0xbbebbb47, v33 op_sel_hi:[1,0]
	v_add_f16_e32 v34, v36, v34
	v_add_f16_e32 v43, v43, v0
	v_pk_mul_f16 v50, 0x38533beb, v35 op_sel_hi:[1,0]
	v_add_f16_e32 v39, v39, v48
	v_pk_mul_f16 v35, 0x3482ba0c, v35 op_sel_hi:[1,0]
	v_add_f16_e32 v34, v40, v34
	v_add_f16_e32 v43, v43, v13
	v_pk_fma_f16 v44, 0xb08e36a6, v7, v33 op_sel_hi:[1,0,1]
	v_pk_fma_f16 v33, 0xb08e36a6, v7, v33 op_sel_hi:[1,0,1] neg_lo:[0,0,1] neg_hi:[0,0,1]
	v_pk_mul_f16 v51, 0xba0cb853, v38 op_sel_hi:[1,0]
	v_add_f16_e32 v34, v37, v34
	v_pk_fma_f16 v37, 0xbbadb93d, v7, v49 op_sel_hi:[1,0,1] neg_lo:[0,0,1] neg_hi:[0,0,1]
	v_add_f16_e32 v43, v43, v17
	v_pk_fma_f16 v7, 0xbbadb93d, v7, v49 op_sel_hi:[1,0,1]
	v_pk_mul_f16 v38, 0x3b473482, v38 op_sel_hi:[1,0]
	v_add_f16_e32 v39, v39, v34
	v_pk_add_f16 v34, v23, v37 op_sel_hi:[0,1]
	v_pk_fma_f16 v37, 0x3abbb08e, v8, v50 op_sel_hi:[1,0,1] neg_lo:[0,0,1] neg_hi:[0,0,1]
	v_pk_fma_f16 v45, 0xbbadb93d, v8, v35 op_sel_hi:[1,0,1]
	v_pk_add_f16 v33, v23, v33 op_sel_hi:[0,1]
	v_pk_fma_f16 v35, 0xbbadb93d, v8, v35 op_sel_hi:[1,0,1] neg_lo:[0,0,1] neg_hi:[0,0,1]
	v_pk_mul_f16 v52, 0x3b47b482, v41 op_sel_hi:[1,0]
	v_pk_add_f16 v44, v23, v44 op_sel_hi:[0,1]
	v_add_f16_e32 v36, v43, v19
	v_pk_add_f16 v7, v23, v7 op_sel_hi:[0,1]
	v_pk_fma_f16 v8, 0x3abbb08e, v8, v50 op_sel_hi:[1,0,1]
	v_pk_add_f16 v23, v37, v34
	v_pk_fma_f16 v34, 0xb93d3abb, v26, v51 op_sel_hi:[1,0,1] neg_lo:[0,0,1] neg_hi:[0,0,1]
	v_pk_mul_f16 v41, 0xb8533beb, v41 op_sel_hi:[1,0]
	v_pk_add_f16 v33, v35, v33
	v_pk_fma_f16 v35, 0x36a6bbad, v26, v38 op_sel_hi:[1,0,1] neg_lo:[0,0,1] neg_hi:[0,0,1]
	v_pk_mul_f16 v53, 0xbbeb3b47, v42 op_sel_hi:[1,0]
	v_pk_fma_f16 v43, 0x36a6bbad, v26, v38 op_sel_hi:[1,0,1]
	v_pk_add_f16 v44, v45, v44
	v_add_f16_e32 v36, v36, v22
	v_pk_add_f16 v7, v8, v7
	v_pk_fma_f16 v8, 0xb93d3abb, v26, v51 op_sel_hi:[1,0,1]
	v_pk_add_f16 v23, v34, v23
	v_pk_fma_f16 v26, 0x36a6bbad, v31, v52 op_sel_hi:[1,0,1] neg_lo:[0,0,1] neg_hi:[0,0,1]
	v_pk_mul_f16 v42, 0xba0c3853, v42 op_sel_hi:[1,0]
	v_pk_add_f16 v33, v35, v33
	v_pk_fma_f16 v34, 0x3abbb08e, v31, v41 op_sel_hi:[1,0,1] neg_lo:[0,0,1] neg_hi:[0,0,1]
	v_pk_fma_f16 v40, 0x3abbb08e, v31, v41 op_sel_hi:[1,0,1]
	v_pk_add_f16 v43, v43, v44
	v_add_f16_e32 v36, v36, v24
	v_pk_add_f16 v7, v8, v7
	v_pk_fma_f16 v8, 0x36a6bbad, v31, v52 op_sel_hi:[1,0,1]
	v_pk_add_f16 v23, v26, v23
	v_pk_fma_f16 v26, 0xb08e36a6, v32, v53 op_sel_hi:[1,0,1] neg_lo:[0,0,1] neg_hi:[0,0,1]
	v_pk_add_f16 v31, v34, v33
	v_pk_fma_f16 v33, 0xb93d3abb, v32, v42 op_sel_hi:[1,0,1] neg_lo:[0,0,1] neg_hi:[0,0,1]
	v_pk_fma_f16 v45, 0xb93d3abb, v32, v42 op_sel_hi:[1,0,1]
	v_pk_add_f16 v40, v40, v43
	v_add_f16_e32 v36, v36, v25
	v_pk_add_f16 v7, v8, v7
	v_pk_fma_f16 v8, 0xb08e36a6, v32, v53 op_sel_hi:[1,0,1]
	v_pk_add_f16 v23, v26, v23
	v_pk_add_f16 v35, v33, v31
	v_mad_u32_u24 v26, v5, 22, 0
	v_pk_add_f16 v32, v45, v40
	v_pk_add_f16 v33, v8, v7
	v_alignbit_b32 v34, v23, v23, 16
	v_pack_b32_f16 v31, v36, v39
	v_alignbit_b32 v7, v35, v35, 16
	ds_store_b128 v26, v[31:34]
	ds_store_b32 v26, v7 offset:16
	ds_store_b16 v26, v6 offset:20
.LBB0_13:
	s_or_b32 exec_lo, exec_lo, s1
	v_add_f16_e32 v32, v30, v10
	v_sub_f16_e32 v41, v20, v25
	v_add_f16_e32 v31, v29, v11
	v_sub_f16_e32 v38, v21, v24
	v_sub_f16_e32 v43, v18, v22
	v_pk_mul_f16 v35, 0x36a63abb, v32 op_sel_hi:[1,0]
	v_pk_mul_f16 v36, 0xbb47b853, v41 op_sel_hi:[1,0]
	;; [unrolled: 1-line block ×4, first 2 shown]
	v_sub_f16_e32 v45, v0, v19
	v_lshl_add_u32 v0, v5, 1, 0
	v_add_f16_e32 v7, v35, v36
	v_add_f16_e32 v33, v28, v12
	v_add_f16_e32 v18, v37, v39
	v_sub_f16_e32 v8, v13, v17
	s_waitcnt lgkmcnt(0)
	v_add_f16_e32 v20, v9, v7
	s_barrier
	buffer_gl0_inv
	v_add_f16_e32 v34, v27, v14
	v_pk_mul_f16 v40, 0xbbadb08e, v33 op_sel_hi:[1,0]
	v_add_f16_e32 v46, v18, v20
	ds_load_u16 v17, v0 offset:2376
	ds_load_u16 v18, v0 offset:2772
	ds_load_u16 v22, v0
	ds_load_u16 v23, v0 offset:396
	ds_load_u16 v24, v0 offset:792
	;; [unrolled: 1-line block ×7, first 2 shown]
	v_pk_mul_f16 v42, 0x3482bbeb, v43 op_sel_hi:[1,0]
	v_add_f16_e32 v7, v16, v15
	v_pk_mul_f16 v44, 0xb08eb93d, v34 op_sel_hi:[1,0]
	v_pk_mul_f16 v48, 0x3bebba0c, v45 op_sel_hi:[1,0]
	v_pk_mul_f16 v47, 0x3853b482, v8 op_sel_hi:[1,0]
	v_add_f16_e32 v13, v40, v42
	s_waitcnt lgkmcnt(0)
	s_barrier
	v_add_f16_e32 v49, v44, v48
	buffer_gl0_inv
	v_add_f16_e32 v13, v13, v46
	v_pk_mul_f16 v46, 0x3abbbbad, v7 op_sel_hi:[1,0]
	s_delay_alu instid0(VALU_DEP_2) | instskip(NEXT) | instid1(VALU_DEP_2)
	v_add_f16_e32 v13, v49, v13
	v_add_f16_e32 v49, v46, v47
	s_delay_alu instid0(VALU_DEP_1)
	v_add_f16_e32 v13, v49, v13
	s_and_saveexec_b32 s1, s0
	s_cbranch_execz .LBB0_15
; %bb.14:
	v_add_f16_e32 v30, v9, v30
	v_pack_b32_f16 v50, v41, v41
	v_mul_f16_e32 v41, 0xb482, v41
	v_pk_add_f16 v35, v35, v36 neg_lo:[0,1] neg_hi:[0,1]
	v_pack_b32_f16 v49, v32, v32
	v_add_f16_e32 v29, v30, v29
	v_pack_b32_f16 v52, v38, v38
	v_pack_b32_f16 v53, v43, v43
	v_mul_f16_e32 v57, 0xbbad, v32
	v_mul_f16_e32 v38, 0x3853, v38
	v_add_f16_e32 v28, v29, v28
	v_mul_f16_e32 v43, 0xba0c, v43
	v_pk_add_f16 v36, v37, v39 neg_lo:[0,1] neg_hi:[0,1]
	v_fma_f16 v32, v32, 0xbbad, -v41
	v_pk_add_f16 v35, v9, v35 op_sel_hi:[0,1]
	v_add_f16_e32 v27, v28, v27
	v_pack_b32_f16 v51, v31, v31
	v_pack_b32_f16 v30, v33, v33
	;; [unrolled: 1-line block ×3, first 2 shown]
	v_mul_f16_e32 v28, 0x3abb, v31
	v_add_f16_e32 v16, v27, v16
	v_mul_f16_e32 v58, 0xb93d, v33
	v_mul_f16_e32 v45, 0x3b47, v45
	v_add_f16_e32 v32, v9, v32
	v_pack_b32_f16 v54, v34, v34
	v_add_f16_e32 v15, v16, v15
	v_pk_add_f16 v16, v40, v42 neg_lo:[0,1] neg_hi:[0,1]
	v_mul_f16_e32 v27, 0x36a6, v34
	v_pk_add_f16 v37, v44, v48 neg_lo:[0,1] neg_hi:[0,1]
	v_pk_mul_f16 v40, 0xba0c3482, v52
	v_add_f16_e32 v14, v15, v14
	v_fma_f16 v15, v31, 0x3abb, -v38
	v_fma_f16 v31, v33, 0xb93d, -v43
	v_pk_add_f16 v33, v36, v35
	v_pk_mul_f16 v36, 0xbb47bbeb, v50
	v_add_f16_e32 v12, v14, v12
	v_fma_f16 v14, v34, 0x36a6, -v45
	v_pk_mul_f16 v34, 0xba0cbbeb, v50
	v_add_f16_e32 v15, v15, v32
	v_pk_add_f16 v16, v16, v33
	v_add_f16_e32 v11, v12, v11
	v_pk_mul_f16 v12, 0x3beb3482, v52
	v_pk_fma_f16 v32, 0xb93db08e, v49, v34 neg_lo:[0,0,1] neg_hi:[0,0,1]
	v_add_f16_e32 v15, v31, v15
	v_pk_add_f16 v16, v37, v16
	v_add_f16_e32 v11, v11, v10
	v_pk_add_f16 v10, v46, v47 neg_lo:[0,1] neg_hi:[0,1]
	v_pk_add_f16 v31, v9, v32 op_sel_hi:[0,1]
	v_pk_fma_f16 v32, 0xb08ebbad, v51, v12 neg_lo:[0,0,1] neg_hi:[0,0,1]
	v_add_f16_e32 v14, v14, v15
	v_pk_mul_f16 v33, 0xb8533b47, v53
	v_pk_add_f16 v15, v10, v16
	v_pk_mul_f16 v10, 0xb93db08e, v49
	v_pk_add_f16 v16, v32, v31
	v_pk_mul_f16 v32, 0xb08ebbad, v51
	v_bfi_b32 v34, 0xffff, v41, v34
	v_pk_fma_f16 v31, 0x3abb36a6, v30, v33 neg_lo:[0,0,1] neg_hi:[0,0,1]
	v_bfi_b32 v10, 0xffff, v57, v10
	v_pk_mul_f16 v35, 0xb482b853, v55
	v_pk_mul_f16 v37, 0x3abb36a6, v30
	v_pk_fma_f16 v36, 0x36a6b08e, v49, v36
	v_bfi_b32 v28, 0xffff, v28, v32
	v_pk_add_f16 v10, v10, v34
	v_bfi_b32 v12, 0xffff, v38, v12
	v_pk_add_f16 v16, v31, v16
	v_pk_fma_f16 v39, 0xbbad3abb, v54, v35 neg_lo:[0,0,1] neg_hi:[0,0,1]
	v_pack_b32_f16 v29, v7, v7
	v_pack_b32_f16 v56, v8, v8
	v_pk_mul_f16 v31, 0xbbad3abb, v54
	v_pk_add_f16 v36, v9, v36 op_sel_hi:[0,1]
	v_pk_add_f16 v9, v9, v10 op_sel_hi:[0,1]
	v_pk_add_f16 v10, v28, v12
	v_bfi_b32 v12, 0xffff, v58, v37
	v_bfi_b32 v28, 0xffff, v43, v33
	v_pk_add_f16 v16, v39, v16
	v_pk_fma_f16 v39, 0xb93dbbad, v51, v40
	v_pk_mul_f16 v40, 0x34823b47, v53
	v_pk_mul_f16 v32, 0x3b47ba0c, v56
	v_pk_mul_f16 v33, 0x36a6b93d, v29
	v_pk_add_f16 v9, v10, v9
	v_pk_add_f16 v10, v12, v28
	v_bfi_b32 v12, 0xffff, v27, v31
	v_bfi_b32 v27, 0xffff, v45, v35
	v_mul_f16_e32 v28, 0xb08e, v7
	v_mul_f16_e32 v8, 0xbbeb, v8
	v_pk_add_f16 v34, v39, v36
	v_pk_fma_f16 v30, 0xbbad36a6, v30, v40
	v_pk_mul_f16 v31, 0x3bebb853, v55
	v_pk_fma_f16 v36, 0x36a6b93d, v29, v32 neg_lo:[0,0,1] neg_hi:[0,0,1]
	v_pk_add_f16 v9, v10, v9
	v_pk_add_f16 v10, v12, v27
	v_bfi_b32 v12, 0xffff, v28, v33
	v_bfi_b32 v27, 0xffff, v8, v32
	v_fma_f16 v7, v7, 0xb08e, -v8
	v_pk_add_f16 v30, v30, v34
	v_pk_fma_f16 v28, 0xb08e3abb, v54, v31
	v_pk_mul_f16 v8, 0x3853ba0c, v56
	v_pk_add_f16 v9, v10, v9
	v_pk_add_f16 v10, v12, v27
	;; [unrolled: 1-line block ×3, first 2 shown]
	v_add_f16_e32 v7, v7, v14
	v_pk_add_f16 v14, v28, v30
	v_pk_fma_f16 v16, 0x3abbb93d, v29, v8
	v_pk_add_f16 v10, v10, v9
	v_mad_u32_u24 v27, v5, 20, v0
	v_alignbit_b32 v9, v7, v12, 16
	v_alignbit_b32 v8, v12, v15, 16
	v_pack_b32_f16 v7, v11, v15
	v_pk_add_f16 v11, v16, v14
	ds_store_b128 v27, v[7:10]
	ds_store_b32 v27, v11 offset:16
	ds_store_b16 v27, v13 offset:20
.LBB0_15:
	s_or_b32 exec_lo, exec_lo, s1
	v_and_b32_e32 v15, 0xff, v5
	v_add_nc_u32_e32 v10, 0x18c, v5
	v_add_nc_u32_e32 v9, 0x252, v5
	s_load_b64 s[2:3], s[2:3], 0x0
	s_waitcnt lgkmcnt(0)
	v_mul_lo_u16 v7, 0x75, v15
	v_and_b32_e32 v14, 0xffff, v10
	s_barrier
	buffer_gl0_inv
	v_cmp_gt_u32_e64 s0, 0x42, v5
	v_lshrrev_b16 v12, 8, v7
	v_add_nc_u32_e32 v7, 0xc6, v5
	v_mul_u32_u24_e32 v33, 0xba2f, v14
	s_delay_alu instid0(VALU_DEP_3) | instskip(NEXT) | instid1(VALU_DEP_3)
	v_sub_nc_u16 v8, v5, v12
	v_and_b32_e32 v16, 0xffff, v7
	s_delay_alu instid0(VALU_DEP_3) | instskip(NEXT) | instid1(VALU_DEP_3)
	v_lshrrev_b32_e32 v30, 19, v33
	v_lshrrev_b16 v11, 1, v8
	v_add_nc_u32_e32 v8, 0x318, v5
	s_delay_alu instid0(VALU_DEP_4) | instskip(NEXT) | instid1(VALU_DEP_4)
	v_mul_u32_u24_e32 v34, 0xba2f, v16
	v_mul_lo_u16 v36, v30, 11
	v_mul_u32_u24_e32 v30, 44, v30
	v_and_b32_e32 v27, 0x7f, v11
	v_and_b32_e32 v11, 0xffff, v9
	;; [unrolled: 1-line block ×3, first 2 shown]
	v_lshrrev_b32_e32 v29, 19, v34
	v_sub_nc_u16 v36, v10, v36
	v_add_nc_u16 v12, v27, v12
	v_mul_u32_u24_e32 v27, 0xba2f, v11
	v_mul_u32_u24_e32 v28, 0xba2f, v28
	v_mul_lo_u16 v35, v29, 11
	v_and_b32_e32 v51, 0xffff, v36
	v_lshrrev_b16 v12, 3, v12
	v_lshrrev_b32_e32 v31, 19, v27
	v_lshrrev_b32_e32 v28, 19, v28
	v_sub_nc_u16 v35, v7, v35
	v_mul_u32_u24_e32 v29, 44, v29
	v_mul_lo_u16 v32, v12, 11
	v_mul_lo_u16 v37, v31, 11
	;; [unrolled: 1-line block ×3, first 2 shown]
	v_and_b32_e32 v50, 0xffff, v35
	v_and_b32_e32 v12, 0xffff, v12
	v_sub_nc_u16 v32, v5, v32
	v_sub_nc_u16 v37, v9, v37
	;; [unrolled: 1-line block ×3, first 2 shown]
	v_lshlrev_b32_e32 v36, 2, v50
	v_lshlrev_b32_e32 v50, 1, v50
	v_and_b32_e32 v32, 0xff, v32
	v_and_b32_e32 v52, 0xffff, v37
	;; [unrolled: 1-line block ×3, first 2 shown]
	v_lshlrev_b32_e32 v37, 2, v51
	v_mul_u32_u24_e32 v31, 44, v31
	v_lshlrev_b32_e32 v35, 2, v32
	v_lshlrev_b32_e32 v38, 2, v52
	;; [unrolled: 1-line block ×3, first 2 shown]
	v_mul_u32_u24_e32 v28, 44, v28
	v_lshlrev_b32_e32 v52, 1, v52
	s_clause 0x4
	global_load_b32 v40, v35, s[8:9]
	global_load_b32 v41, v36, s[8:9]
	;; [unrolled: 1-line block ×5, first 2 shown]
	ds_load_u16 v45, v0 offset:2376
	ds_load_u16 v46, v0 offset:2772
	ds_load_u16 v35, v0
	ds_load_u16 v36, v0 offset:396
	ds_load_u16 v37, v0 offset:792
	;; [unrolled: 1-line block ×7, first 2 shown]
	v_lshlrev_b32_e32 v54, 1, v53
	v_add3_u32 v53, 0, v29, v50
	v_mul_u32_u24_e32 v12, 44, v12
	v_lshlrev_b32_e32 v29, 1, v32
	v_lshlrev_b32_e32 v51, 1, v51
	v_add3_u32 v50, 0, v31, v52
	v_add3_u32 v52, 0, v28, v54
	s_waitcnt vmcnt(0) lgkmcnt(0)
	v_add3_u32 v54, 0, v12, v29
	v_add3_u32 v51, 0, v30, v51
	s_barrier
	buffer_gl0_inv
	v_lshrrev_b32_e32 v59, 16, v40
	v_lshrrev_b32_e32 v58, 16, v41
	v_lshrrev_b32_e32 v57, 16, v42
	v_lshrrev_b32_e32 v56, 16, v43
	v_lshrrev_b32_e32 v55, 16, v44
	v_mul_f16_e32 v12, v49, v59
	v_mul_f16_e32 v28, v45, v58
	;; [unrolled: 1-line block ×5, first 2 shown]
	v_fmac_f16_e32 v12, v21, v40
	v_fmac_f16_e32 v28, v17, v41
	;; [unrolled: 1-line block ×5, first 2 shown]
	v_sub_f16_e32 v32, v22, v12
	v_sub_f16_e32 v28, v23, v28
	;; [unrolled: 1-line block ×5, first 2 shown]
	v_fma_f16 v22, v22, 2.0, -v32
	v_fma_f16 v23, v23, 2.0, -v28
	;; [unrolled: 1-line block ×5, first 2 shown]
	ds_store_b16 v54, v22
	ds_store_b16 v54, v32 offset:22
	ds_store_b16 v53, v23
	ds_store_b16 v53, v28 offset:22
	;; [unrolled: 2-line block ×5, first 2 shown]
	s_waitcnt lgkmcnt(0)
	s_barrier
	buffer_gl0_inv
	ds_load_u16 v22, v0
	ds_load_u16 v24, v0 offset:396
	ds_load_u16 v26, v0 offset:1716
	;; [unrolled: 1-line block ×8, first 2 shown]
                                        ; implicit-def: $vgpr30
	s_and_saveexec_b32 s1, s0
	s_cbranch_execz .LBB0_17
; %bb.16:
	ds_load_u16 v12, v0 offset:1188
	ds_load_u16 v6, v0 offset:2508
	;; [unrolled: 1-line block ×3, first 2 shown]
.LBB0_17:
	s_or_b32 exec_lo, exec_lo, s1
	v_mul_f16_e32 v21, v21, v59
	v_mul_f16_e32 v17, v17, v58
	;; [unrolled: 1-line block ×5, first 2 shown]
	v_fma_f16 v21, v49, v40, -v21
	v_fma_f16 v17, v45, v41, -v17
	;; [unrolled: 1-line block ×5, first 2 shown]
	v_sub_f16_e32 v21, v35, v21
	v_sub_f16_e32 v40, v36, v17
	;; [unrolled: 1-line block ×5, first 2 shown]
	v_fma_f16 v19, v35, 2.0, -v21
	v_fma_f16 v35, v36, 2.0, -v40
	;; [unrolled: 1-line block ×5, first 2 shown]
	s_waitcnt lgkmcnt(0)
	s_barrier
	buffer_gl0_inv
	ds_store_b16 v54, v19
	ds_store_b16 v54, v21 offset:22
	ds_store_b16 v53, v35
	ds_store_b16 v53, v40 offset:22
	;; [unrolled: 2-line block ×5, first 2 shown]
	s_waitcnt lgkmcnt(0)
	s_barrier
	buffer_gl0_inv
	ds_load_u16 v18, v0
	ds_load_u16 v19, v0 offset:396
	ds_load_u16 v35, v0 offset:1716
	;; [unrolled: 1-line block ×8, first 2 shown]
                                        ; implicit-def: $vgpr38
	s_and_saveexec_b32 s1, s0
	s_cbranch_execz .LBB0_19
; %bb.18:
	ds_load_u16 v17, v0 offset:1188
	ds_load_u16 v13, v0 offset:2508
	;; [unrolled: 1-line block ×3, first 2 shown]
.LBB0_19:
	s_or_b32 exec_lo, exec_lo, s1
	v_lshrrev_b16 v41, 1, v5
	v_lshrrev_b32_e32 v34, 20, v34
	v_lshrrev_b32_e32 v33, 20, v33
	;; [unrolled: 1-line block ×3, first 2 shown]
	s_delay_alu instid0(VALU_DEP_4) | instskip(NEXT) | instid1(VALU_DEP_4)
	v_and_b32_e32 v41, 0x7f, v41
	v_mul_lo_u16 v43, v34, 22
	s_delay_alu instid0(VALU_DEP_4) | instskip(NEXT) | instid1(VALU_DEP_4)
	v_mul_lo_u16 v44, v33, 22
	v_mul_lo_u16 v45, v27, 22
	s_delay_alu instid0(VALU_DEP_4) | instskip(NEXT) | instid1(VALU_DEP_4)
	v_mul_lo_u16 v41, 0xbb, v41
	v_sub_nc_u16 v43, v7, v43
	s_delay_alu instid0(VALU_DEP_4) | instskip(NEXT) | instid1(VALU_DEP_3)
	v_sub_nc_u16 v44, v10, v44
	v_lshrrev_b16 v41, 11, v41
	s_delay_alu instid0(VALU_DEP_3) | instskip(NEXT) | instid1(VALU_DEP_3)
	v_and_b32_e32 v43, 0xffff, v43
	v_and_b32_e32 v44, 0xffff, v44
	s_delay_alu instid0(VALU_DEP_3) | instskip(NEXT) | instid1(VALU_DEP_3)
	v_mul_lo_u16 v42, v41, 22
	v_lshlrev_b32_e32 v47, 3, v43
	s_delay_alu instid0(VALU_DEP_3) | instskip(SKIP_3) | instid1(VALU_DEP_1)
	v_lshlrev_b32_e32 v48, 3, v44
	v_and_b32_e32 v41, 0xffff, v41
	v_lshlrev_b32_e32 v43, 1, v43
	v_sub_nc_u16 v42, v5, v42
	v_and_b32_e32 v46, 0xff, v42
	v_sub_nc_u16 v42, v9, v45
	s_delay_alu instid0(VALU_DEP_2) | instskip(NEXT) | instid1(VALU_DEP_2)
	v_lshlrev_b32_e32 v45, 3, v46
	v_and_b32_e32 v42, 0xffff, v42
	global_load_b64 v[53:54], v45, s[8:9] offset:44
	v_lshlrev_b32_e32 v45, 3, v42
	s_clause 0x2
	global_load_b64 v[55:56], v47, s[8:9] offset:44
	global_load_b64 v[57:58], v48, s[8:9] offset:44
	global_load_b64 v[59:60], v45, s[8:9] offset:44
	v_mul_u32_u24_e32 v45, 0x84, v34
	v_mul_u32_u24_e32 v47, 0x84, v33
	v_mul_lo_u16 v33, 0x42, v27
	v_lshlrev_b32_e32 v27, 1, v44
	v_lshlrev_b32_e32 v34, 1, v42
	v_mul_u32_u24_e32 v44, 0x84, v41
	v_add3_u32 v42, 0, v45, v43
	v_lshlrev_b32_e32 v43, 1, v46
	v_add3_u32 v41, 0, v47, v27
	s_waitcnt vmcnt(0) lgkmcnt(0)
	s_barrier
	buffer_gl0_inv
	v_add3_u32 v43, 0, v44, v43
	v_lshrrev_b32_e32 v27, 16, v53
	v_lshrrev_b32_e32 v44, 16, v54
	;; [unrolled: 1-line block ×8, first 2 shown]
	v_mul_f16_e32 v50, v40, v27
	v_mul_f16_e32 v51, v39, v44
	;; [unrolled: 1-line block ×15, first 2 shown]
	v_fmac_f16_e32 v50, v32, v53
	v_fmac_f16_e32 v51, v31, v54
	;; [unrolled: 1-line block ×6, first 2 shown]
	v_mul_f16_e32 v67, v29, v52
	v_fma_f16 v53, v40, v53, -v27
	v_fma_f16 v39, v39, v54, -v63
	;; [unrolled: 1-line block ×4, first 2 shown]
	v_fmac_f16_e32 v44, v28, v57
	v_fmac_f16_e32 v46, v29, v58
	v_fma_f16 v35, v13, v59, -v61
	v_fma_f16 v13, v38, v60, -v62
	v_add_f16_e32 v21, v50, v51
	v_add_f16_e32 v38, v45, v47
	;; [unrolled: 1-line block ×3, first 2 shown]
	v_fma_f16 v32, v36, v57, -v66
	v_fma_f16 v31, v37, v58, -v67
	v_add_f16_e32 v6, v22, v50
	v_sub_f16_e32 v23, v53, v39
	v_add_f16_e32 v30, v44, v46
	v_add_f16_e32 v37, v12, v45
	v_sub_f16_e32 v54, v35, v13
	v_fmac_f16_e32 v22, -0.5, v21
	v_fmac_f16_e32 v12, -0.5, v38
	v_add_f16_e32 v26, v24, v48
	v_sub_f16_e32 v28, v52, v40
	v_add_f16_e32 v29, v25, v44
	v_fmac_f16_e32 v24, -0.5, v27
	v_sub_f16_e32 v36, v32, v31
	v_add_f16_e32 v55, v6, v51
	v_fmac_f16_e32 v25, -0.5, v30
	v_add_f16_e32 v6, v37, v47
	v_fmamk_f16 v27, v23, 0xbaee, v22
	v_fmac_f16_e32 v22, 0x3aee, v23
	v_fmamk_f16 v23, v54, 0xbaee, v12
	v_fmac_f16_e32 v12, 0x3aee, v54
	v_add_f16_e32 v21, v26, v49
	v_add_f16_e32 v26, v29, v46
	v_fmamk_f16 v29, v28, 0xbaee, v24
	v_fmac_f16_e32 v24, 0x3aee, v28
	v_fmamk_f16 v28, v36, 0xbaee, v25
	v_fmac_f16_e32 v25, 0x3aee, v36
	ds_store_b16 v43, v55
	ds_store_b16 v43, v27 offset:44
	ds_store_b16 v43, v22 offset:88
	ds_store_b16 v42, v21
	ds_store_b16 v42, v29 offset:44
	ds_store_b16 v42, v24 offset:88
	;; [unrolled: 3-line block ×3, first 2 shown]
	s_and_saveexec_b32 s1, s0
	s_cbranch_execz .LBB0_21
; %bb.20:
	v_and_b32_e32 v21, 0xffff, v33
	s_delay_alu instid0(VALU_DEP_1) | instskip(NEXT) | instid1(VALU_DEP_1)
	v_lshlrev_b32_e32 v21, 1, v21
	v_add3_u32 v21, 0, v34, v21
	ds_store_b16 v21, v6
	ds_store_b16 v21, v23 offset:44
	ds_store_b16 v21, v12 offset:88
.LBB0_21:
	s_or_b32 exec_lo, exec_lo, s1
	s_waitcnt lgkmcnt(0)
	s_barrier
	buffer_gl0_inv
	ds_load_u16 v21, v0
	ds_load_u16 v22, v0 offset:396
	ds_load_u16 v26, v0 offset:1716
	;; [unrolled: 1-line block ×8, first 2 shown]
	s_and_saveexec_b32 s1, s0
	s_cbranch_execz .LBB0_23
; %bb.22:
	ds_load_u16 v6, v0 offset:1188
	ds_load_u16 v23, v0 offset:2508
	;; [unrolled: 1-line block ×3, first 2 shown]
.LBB0_23:
	s_or_b32 exec_lo, exec_lo, s1
	v_add_f16_e32 v36, v53, v39
	v_sub_f16_e32 v38, v50, v51
	v_add_f16_e32 v50, v52, v40
	v_add_f16_e32 v37, v18, v53
	v_sub_f16_e32 v48, v48, v49
	v_fmac_f16_e32 v18, -0.5, v36
	v_add_f16_e32 v36, v19, v52
	v_fmac_f16_e32 v19, -0.5, v50
	v_add_f16_e32 v37, v37, v39
	s_waitcnt lgkmcnt(0)
	v_fmamk_f16 v39, v38, 0x3aee, v18
	v_fmac_f16_e32 v18, 0xbaee, v38
	v_add_f16_e32 v36, v36, v40
	v_add_f16_e32 v38, v32, v31
	v_fmamk_f16 v40, v48, 0x3aee, v19
	v_fmac_f16_e32 v19, 0xbaee, v48
	v_add_f16_e32 v48, v35, v13
	v_add_f16_e32 v32, v20, v32
	v_fmac_f16_e32 v20, -0.5, v38
	v_sub_f16_e32 v38, v44, v46
	v_add_f16_e32 v35, v17, v35
	v_fmac_f16_e32 v17, -0.5, v48
	v_sub_f16_e32 v44, v45, v47
	v_add_f16_e32 v32, v32, v31
	v_fmamk_f16 v45, v38, 0x3aee, v20
	v_add_f16_e32 v13, v35, v13
	v_fmac_f16_e32 v20, 0xbaee, v38
	v_fmamk_f16 v31, v44, 0x3aee, v17
	v_fmac_f16_e32 v17, 0xbaee, v44
	s_barrier
	buffer_gl0_inv
	ds_store_b16 v43, v37
	ds_store_b16 v43, v39 offset:44
	ds_store_b16 v43, v18 offset:88
	ds_store_b16 v42, v36
	ds_store_b16 v42, v40 offset:44
	ds_store_b16 v42, v19 offset:88
	;; [unrolled: 3-line block ×3, first 2 shown]
	s_and_saveexec_b32 s1, s0
	s_cbranch_execz .LBB0_25
; %bb.24:
	v_and_b32_e32 v18, 0xffff, v33
	s_delay_alu instid0(VALU_DEP_1) | instskip(NEXT) | instid1(VALU_DEP_1)
	v_lshlrev_b32_e32 v18, 1, v18
	v_add3_u32 v18, 0, v34, v18
	ds_store_b16 v18, v13
	ds_store_b16 v18, v31 offset:44
	ds_store_b16 v18, v17 offset:88
.LBB0_25:
	s_or_b32 exec_lo, exec_lo, s1
	s_waitcnt lgkmcnt(0)
	s_barrier
	buffer_gl0_inv
	ds_load_u16 v18, v0
	ds_load_u16 v19, v0 offset:396
	ds_load_u16 v33, v0 offset:1716
	;; [unrolled: 1-line block ×8, first 2 shown]
	s_and_saveexec_b32 s1, s0
	s_cbranch_execz .LBB0_27
; %bb.26:
	ds_load_u16 v13, v0 offset:1188
	ds_load_u16 v31, v0 offset:2508
	;; [unrolled: 1-line block ×3, first 2 shown]
.LBB0_27:
	s_or_b32 exec_lo, exec_lo, s1
	v_mul_lo_u16 v15, 0xf9, v15
	v_mul_u32_u24_e32 v16, 0xf83f, v16
	v_mul_u32_u24_e32 v14, 0xf83f, v14
	;; [unrolled: 1-line block ×3, first 2 shown]
	s_delay_alu instid0(VALU_DEP_4) | instskip(NEXT) | instid1(VALU_DEP_4)
	v_lshrrev_b16 v15, 14, v15
	v_lshrrev_b32_e32 v16, 22, v16
	s_delay_alu instid0(VALU_DEP_4) | instskip(NEXT) | instid1(VALU_DEP_4)
	v_lshrrev_b32_e32 v14, 22, v14
	v_lshrrev_b32_e32 v11, 22, v11
	s_delay_alu instid0(VALU_DEP_4) | instskip(NEXT) | instid1(VALU_DEP_4)
	v_mul_lo_u16 v38, 0x42, v15
	v_mul_lo_u16 v39, 0x42, v16
	s_delay_alu instid0(VALU_DEP_4) | instskip(NEXT) | instid1(VALU_DEP_4)
	v_mul_lo_u16 v40, 0x42, v14
	v_mul_lo_u16 v11, 0x42, v11
	v_and_b32_e32 v15, 0xffff, v15
	v_sub_nc_u16 v38, v5, v38
	v_sub_nc_u16 v7, v7, v39
	;; [unrolled: 1-line block ×4, first 2 shown]
	v_mul_u32_u24_e32 v14, 0x18c, v14
	v_and_b32_e32 v38, 0xff, v38
	v_and_b32_e32 v7, 0xffff, v7
	;; [unrolled: 1-line block ×4, first 2 shown]
	v_mul_u32_u24_e32 v15, 0x18c, v15
	v_lshlrev_b32_e32 v40, 3, v38
	v_lshlrev_b32_e32 v41, 3, v7
	;; [unrolled: 1-line block ×4, first 2 shown]
	v_mul_u32_u24_e32 v16, 0x18c, v16
	global_load_b64 v[46:47], v40, s[8:9] offset:220
	v_lshlrev_b32_e32 v40, 3, v11
	s_clause 0x2
	global_load_b64 v[48:49], v41, s[8:9] offset:220
	global_load_b64 v[50:51], v42, s[8:9] offset:220
	;; [unrolled: 1-line block ×3, first 2 shown]
	v_lshlrev_b32_e32 v42, 1, v39
	v_lshlrev_b32_e32 v41, 1, v7
	v_lshl_add_u32 v7, v11, 1, 0
	v_add3_u32 v40, 0, v15, v38
	s_waitcnt vmcnt(0) lgkmcnt(0)
	v_add3_u32 v38, 0, v14, v42
	v_add3_u32 v39, 0, v16, v41
	s_barrier
	buffer_gl0_inv
	v_lshrrev_b32_e32 v11, 16, v46
	v_lshrrev_b32_e32 v14, 16, v47
	v_lshrrev_b32_e32 v16, 16, v48
	v_lshrrev_b32_e32 v41, 16, v49
	v_lshrrev_b32_e32 v42, 16, v50
	v_lshrrev_b32_e32 v54, 16, v51
	v_lshrrev_b32_e32 v56, 16, v53
	v_mul_f16_e32 v15, v37, v11
	v_mul_f16_e32 v45, v36, v14
	v_lshrrev_b32_e32 v55, 16, v52
	v_mul_f16_e32 v57, v30, v11
	v_mul_f16_e32 v58, v29, v14
	v_mul_f16_e32 v11, v33, v16
	v_mul_f16_e32 v14, v32, v41
	v_mul_f16_e32 v43, v34, v42
	v_mul_f16_e32 v44, v35, v54
	v_mul_f16_e32 v61, v27, v42
	v_mul_f16_e32 v42, v17, v56
	v_mul_f16_e32 v56, v12, v56
	v_fmac_f16_e32 v15, v30, v46
	v_fmac_f16_e32 v45, v29, v47
	v_mul_f16_e32 v59, v26, v16
	v_mul_f16_e32 v60, v25, v41
	;; [unrolled: 1-line block ×4, first 2 shown]
	v_fmac_f16_e32 v11, v26, v48
	v_fmac_f16_e32 v14, v25, v49
	v_mul_f16_e32 v54, v28, v54
	v_fmac_f16_e32 v43, v27, v50
	v_fmac_f16_e32 v44, v28, v51
	v_fma_f16 v37, v37, v46, -v57
	v_fma_f16 v16, v36, v47, -v58
	;; [unrolled: 1-line block ×3, first 2 shown]
	v_add_f16_e32 v17, v15, v45
	v_fma_f16 v33, v33, v48, -v59
	v_fma_f16 v29, v32, v49, -v60
	;; [unrolled: 1-line block ×3, first 2 shown]
	v_add_f16_e32 v31, v11, v14
	v_fma_f16 v30, v34, v50, -v61
	v_fma_f16 v27, v35, v51, -v54
	v_fmac_f16_e32 v42, v12, v53
	v_add_f16_e32 v12, v21, v15
	v_add_f16_e32 v35, v43, v44
	v_fmac_f16_e32 v41, v23, v52
	v_sub_f16_e32 v23, v37, v16
	v_fmac_f16_e32 v21, -0.5, v17
	v_add_f16_e32 v28, v22, v11
	v_sub_f16_e32 v32, v33, v29
	v_fmac_f16_e32 v22, -0.5, v31
	v_add_f16_e32 v34, v24, v43
	v_sub_f16_e32 v36, v30, v27
	v_add_f16_e32 v12, v12, v45
	v_fmac_f16_e32 v24, -0.5, v35
	v_fmamk_f16 v31, v23, 0xbaee, v21
	v_fmac_f16_e32 v21, 0x3aee, v23
	v_add_f16_e32 v17, v28, v14
	v_fmamk_f16 v23, v32, 0xbaee, v22
	v_add_f16_e32 v28, v34, v44
	v_fmac_f16_e32 v22, 0x3aee, v32
	v_fmamk_f16 v32, v36, 0xbaee, v24
	v_fmac_f16_e32 v24, 0x3aee, v36
	ds_store_b16 v40, v12
	ds_store_b16 v40, v31 offset:132
	ds_store_b16 v40, v21 offset:264
	ds_store_b16 v39, v17
	ds_store_b16 v39, v23 offset:132
	ds_store_b16 v39, v22 offset:264
	;; [unrolled: 3-line block ×3, first 2 shown]
	s_and_saveexec_b32 s1, s0
	s_cbranch_execz .LBB0_29
; %bb.28:
	v_add_f16_e32 v12, v41, v42
	v_add_f16_e32 v21, v6, v41
	v_sub_f16_e32 v17, v26, v25
	s_delay_alu instid0(VALU_DEP_3) | instskip(NEXT) | instid1(VALU_DEP_3)
	v_fma_f16 v6, -0.5, v12, v6
	v_add_f16_e32 v12, v21, v42
	s_delay_alu instid0(VALU_DEP_2)
	v_fmamk_f16 v21, v17, 0x3aee, v6
	v_fmac_f16_e32 v6, 0xbaee, v17
	ds_store_b16 v7, v12 offset:3564
	ds_store_b16 v7, v6 offset:3696
	;; [unrolled: 1-line block ×3, first 2 shown]
.LBB0_29:
	s_or_b32 exec_lo, exec_lo, s1
	v_add_f16_e32 v6, v37, v16
	v_add_f16_e32 v12, v18, v37
	v_sub_f16_e32 v15, v15, v45
	v_add_f16_e32 v17, v33, v29
	v_add_f16_e32 v21, v30, v27
	v_fmac_f16_e32 v18, -0.5, v6
	v_add_f16_e32 v6, v19, v33
	v_add_f16_e32 v28, v12, v16
	v_fmac_f16_e32 v19, -0.5, v17
	v_sub_f16_e32 v32, v11, v14
	v_fmamk_f16 v31, v15, 0x3aee, v18
	v_fmac_f16_e32 v18, 0xbaee, v15
	v_add_f16_e32 v30, v20, v30
	v_fmac_f16_e32 v20, -0.5, v21
	s_waitcnt lgkmcnt(0)
	s_barrier
	buffer_gl0_inv
	ds_load_u16 v11, v0
	ds_load_u16 v14, v0 offset:2772
	ds_load_u16 v21, v0 offset:2376
	;; [unrolled: 1-line block ×9, first 2 shown]
	v_sub_f16_e32 v33, v43, v44
	v_add_f16_e32 v6, v6, v29
	v_fmamk_f16 v29, v32, 0x3aee, v19
	v_fmac_f16_e32 v19, 0xbaee, v32
	v_add_f16_e32 v27, v30, v27
	v_fmamk_f16 v30, v33, 0x3aee, v20
	v_fmac_f16_e32 v20, 0xbaee, v33
	s_waitcnt lgkmcnt(0)
	s_barrier
	buffer_gl0_inv
	ds_store_b16 v40, v28
	ds_store_b16 v40, v31 offset:132
	ds_store_b16 v40, v18 offset:264
	ds_store_b16 v39, v6
	ds_store_b16 v39, v29 offset:132
	ds_store_b16 v39, v19 offset:264
	;; [unrolled: 3-line block ×3, first 2 shown]
	s_and_saveexec_b32 s1, s0
	s_cbranch_execz .LBB0_31
; %bb.30:
	v_add_f16_e32 v6, v26, v25
	v_add_f16_e32 v18, v13, v26
	v_sub_f16_e32 v19, v41, v42
	s_delay_alu instid0(VALU_DEP_3) | instskip(NEXT) | instid1(VALU_DEP_3)
	v_fmac_f16_e32 v13, -0.5, v6
	v_add_f16_e32 v6, v18, v25
	s_delay_alu instid0(VALU_DEP_2)
	v_fmamk_f16 v18, v19, 0x3aee, v13
	v_fmac_f16_e32 v13, 0xbaee, v19
	ds_store_b16 v7, v6 offset:3564
	ds_store_b16 v7, v18 offset:3696
	;; [unrolled: 1-line block ×3, first 2 shown]
.LBB0_31:
	s_or_b32 exec_lo, exec_lo, s1
	v_dual_mov_b32 v7, 0 :: v_dual_lshlrev_b32 v6, 2, v5
	s_waitcnt lgkmcnt(0)
	s_barrier
	buffer_gl0_inv
	v_lshlrev_b64 v[18:19], 2, v[6:7]
	s_delay_alu instid0(VALU_DEP_1) | instskip(NEXT) | instid1(VALU_DEP_1)
	v_add_co_u32 v18, s0, s8, v18
	v_add_co_ci_u32_e64 v19, s0, s9, v19, s0
	global_load_b128 v[25:28], v[18:19], off offset:748
	ds_load_u16 v6, v0 offset:792
	ds_load_u16 v13, v0 offset:1584
	;; [unrolled: 1-line block ×7, first 2 shown]
	ds_load_u16 v31, v0
	ds_load_u16 v32, v0 offset:396
	ds_load_u16 v33, v0 offset:3564
	s_waitcnt vmcnt(0) lgkmcnt(0)
	s_barrier
	buffer_gl0_inv
	v_lshrrev_b32_e32 v34, 16, v25
	v_lshrrev_b32_e32 v35, 16, v26
	;; [unrolled: 1-line block ×4, first 2 shown]
	s_delay_alu instid0(VALU_DEP_4) | instskip(NEXT) | instid1(VALU_DEP_4)
	v_mul_f16_e32 v38, v6, v34
	v_mul_f16_e32 v40, v13, v35
	s_delay_alu instid0(VALU_DEP_4) | instskip(NEXT) | instid1(VALU_DEP_4)
	v_mul_f16_e32 v42, v18, v36
	v_mul_f16_e32 v44, v19, v37
	;; [unrolled: 1-line block ×14, first 2 shown]
	v_fmac_f16_e32 v38, v24, v25
	v_fmac_f16_e32 v40, v22, v26
	;; [unrolled: 1-line block ×4, first 2 shown]
	v_fma_f16 v6, v6, v25, -v39
	v_fmac_f16_e32 v46, v17, v25
	v_fmac_f16_e32 v47, v15, v26
	;; [unrolled: 1-line block ×4, first 2 shown]
	v_fma_f16 v13, v13, v26, -v41
	v_fma_f16 v18, v18, v27, -v43
	v_fma_f16 v19, v19, v28, -v45
	v_fma_f16 v17, v30, v25, -v34
	v_fma_f16 v15, v29, v26, -v35
	v_fma_f16 v14, v20, v27, -v36
	v_fma_f16 v16, v33, v28, -v37
	v_add_f16_e32 v20, v11, v38
	v_add_f16_e32 v21, v40, v42
	v_add_f16_e32 v26, v38, v44
	v_add_f16_e32 v29, v31, v6
	v_add_f16_e32 v41, v47, v48
	v_add_f16_e32 v52, v46, v49
	v_sub_f16_e32 v24, v38, v40
	v_sub_f16_e32 v25, v44, v42
	v_sub_f16_e32 v27, v40, v38
	v_sub_f16_e32 v28, v42, v44
	v_add_f16_e32 v39, v12, v46
	v_sub_f16_e32 v22, v6, v19
	v_sub_f16_e32 v33, v38, v44
	v_sub_f16_e32 v35, v6, v13
	v_add_f16_e32 v37, v6, v19
	v_sub_f16_e32 v6, v13, v6
	v_sub_f16_e32 v38, v18, v19
	;; [unrolled: 1-line block ×3, first 2 shown]
	v_add_f16_e32 v55, v32, v17
	v_sub_f16_e32 v58, v17, v15
	v_add_f16_e32 v60, v17, v16
	v_sub_f16_e32 v17, v15, v17
	v_sub_f16_e32 v61, v14, v16
	v_add_f16_e32 v20, v20, v40
	v_fma_f16 v21, -0.5, v21, v11
	v_sub_f16_e32 v23, v13, v18
	v_fmac_f16_e32 v11, -0.5, v26
	v_add_f16_e32 v30, v13, v18
	v_sub_f16_e32 v45, v15, v14
	v_add_f16_e32 v13, v29, v13
	v_fma_f16 v29, -0.5, v41, v12
	v_fmac_f16_e32 v12, -0.5, v52
	v_add_f16_e32 v24, v24, v25
	v_add_f16_e32 v25, v27, v28
	v_add_f16_e32 v28, v39, v47
	v_add_f16_e32 v6, v6, v38
	v_add_f16_e32 v38, v17, v61
	v_add_f16_e32 v17, v20, v42
	v_fmamk_f16 v20, v22, 0xbb9c, v21
	v_fmamk_f16 v39, v23, 0x3b9c, v11
	v_fmac_f16_e32 v11, 0xbb9c, v23
	v_sub_f16_e32 v34, v40, v42
	v_sub_f16_e32 v36, v19, v18
	;; [unrolled: 1-line block ×4, first 2 shown]
	v_fmac_f16_e32 v21, 0x3b9c, v22
	v_fmamk_f16 v42, v45, 0x3b9c, v12
	v_fmac_f16_e32 v12, 0xbb9c, v45
	v_sub_f16_e32 v50, v46, v47
	v_sub_f16_e32 v51, v49, v48
	v_add_f16_e32 v56, v15, v14
	v_add_f16_e32 v15, v55, v15
	;; [unrolled: 1-line block ×4, first 2 shown]
	v_fmamk_f16 v28, v43, 0xbb9c, v29
	v_fmac_f16_e32 v29, 0x3b9c, v43
	v_fmac_f16_e32 v20, 0xb8b4, v23
	;; [unrolled: 1-line block ×4, first 2 shown]
	v_add_f16_e32 v27, v35, v36
	v_add_f16_e32 v35, v53, v54
	v_fmac_f16_e32 v21, 0x38b4, v23
	v_fmac_f16_e32 v12, 0x38b4, v43
	v_sub_f16_e32 v59, v16, v14
	v_fma_f16 v26, -0.5, v30, v31
	v_add_f16_e32 v30, v50, v51
	v_add_f16_e32 v14, v15, v14
	;; [unrolled: 1-line block ×3, first 2 shown]
	v_fmac_f16_e32 v28, 0xb8b4, v45
	v_fmac_f16_e32 v29, 0x38b4, v45
	v_fmac_f16_e32 v42, 0xb8b4, v43
	v_fmac_f16_e32 v20, 0x34f2, v24
	v_fmac_f16_e32 v39, 0x34f2, v25
	v_fmac_f16_e32 v11, 0x34f2, v25
	v_add_f16_e32 v22, v13, v19
	v_add_f16_e32 v13, v18, v49
	v_fmac_f16_e32 v21, 0x34f2, v24
	v_fmac_f16_e32 v12, 0x34f2, v35
	v_add_f16_e32 v23, v14, v16
	v_fmac_f16_e32 v28, 0x34f2, v30
	v_fmac_f16_e32 v29, 0x34f2, v30
	v_fmac_f16_e32 v42, 0x34f2, v35
	ds_store_b16 v0, v15
	ds_store_b16 v0, v20 offset:396
	ds_store_b16 v0, v39 offset:792
	;; [unrolled: 1-line block ×9, first 2 shown]
	s_waitcnt lgkmcnt(0)
	s_barrier
	buffer_gl0_inv
	ds_load_u16 v16, v0 offset:2376
	ds_load_u16 v17, v0 offset:2772
	ds_load_u16 v11, v0
	ds_load_u16 v12, v0 offset:396
	ds_load_u16 v13, v0 offset:792
	;; [unrolled: 1-line block ×7, first 2 shown]
	v_fmac_f16_e32 v31, -0.5, v37
	v_sub_f16_e32 v46, v46, v49
	v_sub_f16_e32 v57, v47, v48
	v_fma_f16 v36, -0.5, v56, v32
	v_fmac_f16_e32 v32, -0.5, v60
	v_fmamk_f16 v40, v33, 0x3b9c, v26
	v_fmamk_f16 v41, v34, 0xbb9c, v31
	v_fmac_f16_e32 v31, 0x3b9c, v34
	v_fmac_f16_e32 v26, 0xbb9c, v33
	v_fmamk_f16 v47, v46, 0x3b9c, v36
	v_fmac_f16_e32 v36, 0xbb9c, v46
	v_fmamk_f16 v48, v57, 0xbb9c, v32
	v_fmac_f16_e32 v32, 0x3b9c, v57
	v_fmac_f16_e32 v40, 0x38b4, v34
	;; [unrolled: 1-line block ×5, first 2 shown]
	v_add_f16_e32 v37, v58, v59
	v_fmac_f16_e32 v47, 0x38b4, v57
	v_fmac_f16_e32 v36, 0xb8b4, v57
	;; [unrolled: 1-line block ×12, first 2 shown]
	s_waitcnt lgkmcnt(0)
	s_barrier
	buffer_gl0_inv
	ds_store_b16 v0, v22
	ds_store_b16 v0, v40 offset:396
	ds_store_b16 v0, v41 offset:792
	;; [unrolled: 1-line block ×9, first 2 shown]
	s_waitcnt lgkmcnt(0)
	s_barrier
	buffer_gl0_inv
	s_and_saveexec_b32 s0, vcc_lo
	s_cbranch_execz .LBB0_33
; %bb.32:
	v_mov_b32_e32 v6, v7
	v_mul_hi_u32 v9, 0x21195767, v9
	v_mul_hi_u32 v8, 0x21195767, v8
	s_delay_alu instid0(VALU_DEP_3) | instskip(NEXT) | instid1(VALU_DEP_1)
	v_lshlrev_b64 v[21:22], 2, v[5:6]
	v_add_co_u32 v5, vcc_lo, s8, v21
	s_delay_alu instid0(VALU_DEP_2) | instskip(NEXT) | instid1(VALU_DEP_2)
	v_add_co_ci_u32_e32 v6, vcc_lo, s9, v22, vcc_lo
	v_add_co_u32 v23, vcc_lo, 0x1000, v5
	s_delay_alu instid0(VALU_DEP_2)
	v_add_co_ci_u32_e32 v24, vcc_lo, 0, v6, vcc_lo
	s_clause 0x4
	global_load_b32 v27, v[23:24], off offset:2988
	global_load_b32 v28, v[23:24], off offset:2196
	;; [unrolled: 1-line block ×5, first 2 shown]
	v_mul_lo_u32 v6, s3, v3
	v_mul_lo_u32 v23, s2, v4
	v_mad_u64_u32 v[4:5], null, s2, v3, 0
	v_mul_hi_u32 v3, 0x21195767, v10
	ds_load_u16 v10, v0 offset:3564
	ds_load_u16 v32, v0 offset:3168
	;; [unrolled: 1-line block ×9, first 2 shown]
	ds_load_u16 v40, v0
	v_lshlrev_b64 v[0:1], 2, v[1:2]
	v_add3_u32 v5, v5, v23, v6
	v_lshrrev_b32_e32 v23, 7, v9
	v_lshrrev_b32_e32 v3, 7, v3
	s_delay_alu instid0(VALU_DEP_1) | instskip(NEXT) | instid1(VALU_DEP_4)
	v_mul_u32_u24_e32 v6, 0x3de, v3
	v_lshlrev_b64 v[3:4], 2, v[4:5]
	v_lshrrev_b32_e32 v5, 7, v8
	s_delay_alu instid0(VALU_DEP_3) | instskip(SKIP_1) | instid1(VALU_DEP_4)
	v_lshlrev_b64 v[8:9], 2, v[6:7]
	v_mul_u32_u24_e32 v6, 0x3de, v23
	v_add_co_u32 v23, vcc_lo, s6, v3
	v_add_co_ci_u32_e32 v4, vcc_lo, s7, v4, vcc_lo
	s_delay_alu instid0(VALU_DEP_3) | instskip(NEXT) | instid1(VALU_DEP_3)
	v_lshlrev_b64 v[2:3], 2, v[6:7]
	v_add_co_u32 v0, vcc_lo, v23, v0
	s_delay_alu instid0(VALU_DEP_3) | instskip(SKIP_1) | instid1(VALU_DEP_3)
	v_add_co_ci_u32_e32 v1, vcc_lo, v4, v1, vcc_lo
	v_mul_u32_u24_e32 v6, 0x3de, v5
	v_add_co_u32 v0, vcc_lo, v0, v21
	s_delay_alu instid0(VALU_DEP_3) | instskip(NEXT) | instid1(VALU_DEP_3)
	v_add_co_ci_u32_e32 v1, vcc_lo, v1, v22, vcc_lo
	v_lshlrev_b64 v[4:5], 2, v[6:7]
	s_delay_alu instid0(VALU_DEP_3) | instskip(NEXT) | instid1(VALU_DEP_3)
	v_add_co_u32 v6, vcc_lo, 0x1000, v0
	v_add_co_ci_u32_e32 v7, vcc_lo, 0, v1, vcc_lo
	v_add_co_u32 v8, vcc_lo, v0, v8
	v_add_co_ci_u32_e32 v9, vcc_lo, v1, v9, vcc_lo
	;; [unrolled: 2-line block ×7, first 2 shown]
	s_waitcnt vmcnt(4)
	v_lshrrev_b32_e32 v41, 16, v27
	s_waitcnt vmcnt(3)
	v_lshrrev_b32_e32 v43, 16, v28
	;; [unrolled: 2-line block ×5, first 2 shown]
	v_mul_f16_e32 v50, v18, v31
	v_mul_f16_e32 v48, v16, v30
	;; [unrolled: 1-line block ×10, first 2 shown]
	s_waitcnt lgkmcnt(5)
	v_fmac_f16_e32 v50, v35, v49
	v_fma_f16 v18, v35, v31, -v18
	v_fmac_f16_e32 v48, v34, v47
	v_fma_f16 v16, v34, v30, -v16
	v_fmac_f16_e32 v42, v10, v41
	v_fmac_f16_e32 v44, v32, v43
	v_fmac_f16_e32 v46, v33, v45
	v_fma_f16 v10, v10, v27, -v20
	v_fma_f16 v19, v32, v28, -v19
	v_fma_f16 v17, v33, v29, -v17
	v_sub_f16_e32 v29, v11, v50
	s_waitcnt lgkmcnt(0)
	v_sub_f16_e32 v18, v40, v18
	v_sub_f16_e32 v28, v12, v48
	;; [unrolled: 1-line block ×9, first 2 shown]
	v_fma_f16 v11, v11, 2.0, -v29
	v_fma_f16 v34, v40, 2.0, -v18
	;; [unrolled: 1-line block ×10, first 2 shown]
	v_pack_b32_f16 v11, v11, v34
	v_pack_b32_f16 v12, v12, v33
	;; [unrolled: 1-line block ×10, first 2 shown]
	s_clause 0x9
	global_store_b32 v[0:1], v11, off
	global_store_b32 v[0:1], v12, off offset:792
	global_store_b32 v[0:1], v18, off offset:3960
	;; [unrolled: 1-line block ×9, first 2 shown]
.LBB0_33:
	s_nop 0
	s_sendmsg sendmsg(MSG_DEALLOC_VGPRS)
	s_endpgm
	.section	.rodata,"a",@progbits
	.p2align	6, 0x0
	.amdhsa_kernel fft_rtc_back_len1980_factors_11_2_3_3_5_2_wgs_198_tpt_198_halfLds_half_op_CI_CI_unitstride_sbrr_dirReg
		.amdhsa_group_segment_fixed_size 0
		.amdhsa_private_segment_fixed_size 0
		.amdhsa_kernarg_size 104
		.amdhsa_user_sgpr_count 15
		.amdhsa_user_sgpr_dispatch_ptr 0
		.amdhsa_user_sgpr_queue_ptr 0
		.amdhsa_user_sgpr_kernarg_segment_ptr 1
		.amdhsa_user_sgpr_dispatch_id 0
		.amdhsa_user_sgpr_private_segment_size 0
		.amdhsa_wavefront_size32 1
		.amdhsa_uses_dynamic_stack 0
		.amdhsa_enable_private_segment 0
		.amdhsa_system_sgpr_workgroup_id_x 1
		.amdhsa_system_sgpr_workgroup_id_y 0
		.amdhsa_system_sgpr_workgroup_id_z 0
		.amdhsa_system_sgpr_workgroup_info 0
		.amdhsa_system_vgpr_workitem_id 0
		.amdhsa_next_free_vgpr 68
		.amdhsa_next_free_sgpr 27
		.amdhsa_reserve_vcc 1
		.amdhsa_float_round_mode_32 0
		.amdhsa_float_round_mode_16_64 0
		.amdhsa_float_denorm_mode_32 3
		.amdhsa_float_denorm_mode_16_64 3
		.amdhsa_dx10_clamp 1
		.amdhsa_ieee_mode 1
		.amdhsa_fp16_overflow 0
		.amdhsa_workgroup_processor_mode 1
		.amdhsa_memory_ordered 1
		.amdhsa_forward_progress 0
		.amdhsa_shared_vgpr_count 0
		.amdhsa_exception_fp_ieee_invalid_op 0
		.amdhsa_exception_fp_denorm_src 0
		.amdhsa_exception_fp_ieee_div_zero 0
		.amdhsa_exception_fp_ieee_overflow 0
		.amdhsa_exception_fp_ieee_underflow 0
		.amdhsa_exception_fp_ieee_inexact 0
		.amdhsa_exception_int_div_zero 0
	.end_amdhsa_kernel
	.text
.Lfunc_end0:
	.size	fft_rtc_back_len1980_factors_11_2_3_3_5_2_wgs_198_tpt_198_halfLds_half_op_CI_CI_unitstride_sbrr_dirReg, .Lfunc_end0-fft_rtc_back_len1980_factors_11_2_3_3_5_2_wgs_198_tpt_198_halfLds_half_op_CI_CI_unitstride_sbrr_dirReg
                                        ; -- End function
	.section	.AMDGPU.csdata,"",@progbits
; Kernel info:
; codeLenInByte = 9936
; NumSgprs: 29
; NumVgprs: 68
; ScratchSize: 0
; MemoryBound: 0
; FloatMode: 240
; IeeeMode: 1
; LDSByteSize: 0 bytes/workgroup (compile time only)
; SGPRBlocks: 3
; VGPRBlocks: 8
; NumSGPRsForWavesPerEU: 29
; NumVGPRsForWavesPerEU: 68
; Occupancy: 16
; WaveLimiterHint : 1
; COMPUTE_PGM_RSRC2:SCRATCH_EN: 0
; COMPUTE_PGM_RSRC2:USER_SGPR: 15
; COMPUTE_PGM_RSRC2:TRAP_HANDLER: 0
; COMPUTE_PGM_RSRC2:TGID_X_EN: 1
; COMPUTE_PGM_RSRC2:TGID_Y_EN: 0
; COMPUTE_PGM_RSRC2:TGID_Z_EN: 0
; COMPUTE_PGM_RSRC2:TIDIG_COMP_CNT: 0
	.text
	.p2alignl 7, 3214868480
	.fill 96, 4, 3214868480
	.type	__hip_cuid_47dea5d991940a93,@object ; @__hip_cuid_47dea5d991940a93
	.section	.bss,"aw",@nobits
	.globl	__hip_cuid_47dea5d991940a93
__hip_cuid_47dea5d991940a93:
	.byte	0                               ; 0x0
	.size	__hip_cuid_47dea5d991940a93, 1

	.ident	"AMD clang version 19.0.0git (https://github.com/RadeonOpenCompute/llvm-project roc-6.4.0 25133 c7fe45cf4b819c5991fe208aaa96edf142730f1d)"
	.section	".note.GNU-stack","",@progbits
	.addrsig
	.addrsig_sym __hip_cuid_47dea5d991940a93
	.amdgpu_metadata
---
amdhsa.kernels:
  - .args:
      - .actual_access:  read_only
        .address_space:  global
        .offset:         0
        .size:           8
        .value_kind:     global_buffer
      - .offset:         8
        .size:           8
        .value_kind:     by_value
      - .actual_access:  read_only
        .address_space:  global
        .offset:         16
        .size:           8
        .value_kind:     global_buffer
      - .actual_access:  read_only
        .address_space:  global
        .offset:         24
        .size:           8
        .value_kind:     global_buffer
      - .actual_access:  read_only
        .address_space:  global
        .offset:         32
        .size:           8
        .value_kind:     global_buffer
      - .offset:         40
        .size:           8
        .value_kind:     by_value
      - .actual_access:  read_only
        .address_space:  global
        .offset:         48
        .size:           8
        .value_kind:     global_buffer
      - .actual_access:  read_only
        .address_space:  global
        .offset:         56
        .size:           8
        .value_kind:     global_buffer
      - .offset:         64
        .size:           4
        .value_kind:     by_value
      - .actual_access:  read_only
        .address_space:  global
        .offset:         72
        .size:           8
        .value_kind:     global_buffer
      - .actual_access:  read_only
        .address_space:  global
        .offset:         80
        .size:           8
        .value_kind:     global_buffer
      - .actual_access:  read_only
        .address_space:  global
        .offset:         88
        .size:           8
        .value_kind:     global_buffer
      - .actual_access:  write_only
        .address_space:  global
        .offset:         96
        .size:           8
        .value_kind:     global_buffer
    .group_segment_fixed_size: 0
    .kernarg_segment_align: 8
    .kernarg_segment_size: 104
    .language:       OpenCL C
    .language_version:
      - 2
      - 0
    .max_flat_workgroup_size: 198
    .name:           fft_rtc_back_len1980_factors_11_2_3_3_5_2_wgs_198_tpt_198_halfLds_half_op_CI_CI_unitstride_sbrr_dirReg
    .private_segment_fixed_size: 0
    .sgpr_count:     29
    .sgpr_spill_count: 0
    .symbol:         fft_rtc_back_len1980_factors_11_2_3_3_5_2_wgs_198_tpt_198_halfLds_half_op_CI_CI_unitstride_sbrr_dirReg.kd
    .uniform_work_group_size: 1
    .uses_dynamic_stack: false
    .vgpr_count:     68
    .vgpr_spill_count: 0
    .wavefront_size: 32
    .workgroup_processor_mode: 1
amdhsa.target:   amdgcn-amd-amdhsa--gfx1100
amdhsa.version:
  - 1
  - 2
...

	.end_amdgpu_metadata
